;; amdgpu-corpus repo=zjin-lcf/HeCBench kind=compiled arch=gfx906 opt=O3
	.amdgcn_target "amdgcn-amd-amdhsa--gfx906"
	.amdhsa_code_object_version 6
	.text
	.protected	_Z10ker_KeccakPKjPjS0_  ; -- Begin function _Z10ker_KeccakPKjPjS0_
	.globl	_Z10ker_KeccakPKjPjS0_
	.p2align	8
	.type	_Z10ker_KeccakPKjPjS0_,@function
_Z10ker_KeccakPKjPjS0_:                 ; @_Z10ker_KeccakPKjPjS0_
; %bb.0:
	s_load_dwordx4 s[0:3], s[4:5], 0x0
	s_load_dwordx2 s[8:9], s[4:5], 0x10
	v_lshl_or_b32 v3, s6, 19, v0
	s_mov_b32 s7, 0
	v_mov_b32_e32 v20, 0
	s_waitcnt lgkmcnt(0)
	v_mov_b32_e32 v4, s1
	v_mov_b32_e32 v24, 0
	;; [unrolled: 1-line block ×26, first 2 shown]
.LBB0_1:                                ; =>This Loop Header: Depth=1
                                        ;     Child Loop BB0_2 Depth 2
	v_lshl_add_u32 v1, s7, 9, v3
	v_lshlrev_b64 v[30:31], 2, v[1:2]
	v_add_u32_e32 v32, 64, v1
	v_mov_b32_e32 v33, v2
	v_add_co_u32_e32 v30, vcc, s0, v30
	v_lshlrev_b64 v[32:33], 2, v[32:33]
	v_addc_co_u32_e32 v31, vcc, v4, v31, vcc
	v_add_u32_e32 v34, 0x80, v1
	v_mov_b32_e32 v35, v2
	v_add_co_u32_e32 v32, vcc, s0, v32
	v_lshlrev_b64 v[34:35], 2, v[34:35]
	v_addc_co_u32_e32 v33, vcc, v4, v33, vcc
	;; [unrolled: 5-line block ×6, first 2 shown]
	v_add_u32_e32 v1, 0x1c0, v1
	v_add_co_u32_e32 v42, vcc, s0, v42
	v_lshlrev_b64 v[44:45], 2, v[1:2]
	v_addc_co_u32_e32 v43, vcc, v4, v43, vcc
	v_add_co_u32_e32 v44, vcc, s0, v44
	v_addc_co_u32_e32 v45, vcc, v4, v45, vcc
	global_load_dword v1, v[30:31], off
	s_nop 0
	global_load_dword v30, v[32:33], off
	global_load_dword v31, v[34:35], off
	s_nop 0
	global_load_dword v32, v[36:37], off
	global_load_dword v33, v[38:39], off
	;; [unrolled: 1-line block ×4, first 2 shown]
	s_nop 0
	global_load_dword v36, v[44:45], off
	s_mov_b64 s[4:5], 0
	s_waitcnt vmcnt(7)
	v_xor_b32_e32 v29, v29, v1
	s_waitcnt vmcnt(6)
	v_xor_b32_e32 v10, v10, v30
	;; [unrolled: 2-line block ×8, first 2 shown]
.LBB0_2:                                ;   Parent Loop BB0_1 Depth=1
                                        ; =>  This Inner Loop Header: Depth=2
	v_xor_b32_e32 v30, v9, v10
	v_xor_b32_e32 v30, v30, v21
	;; [unrolled: 1-line block ×14, first 2 shown]
	v_alignbit_b32 v34, v30, v30, 31
	v_xor_b32_e32 v1, v1, v27
	v_xor_b32_e32 v31, v31, v22
	;; [unrolled: 1-line block ×11, first 2 shown]
	v_alignbit_b32 v34, v31, v31, 31
	v_xor_b32_e32 v32, v32, v24
	v_xor_b32_e32 v34, v34, v1
	;; [unrolled: 1-line block ×7, first 2 shown]
	v_alignbit_b32 v34, v32, v32, 31
	v_xor_b32_e32 v30, v34, v30
	v_xor_b32_e32 v8, v30, v8
	;; [unrolled: 1-line block ×6, first 2 shown]
	v_alignbit_b32 v30, v33, v33, 31
	v_alignbit_b32 v1, v1, v1, 31
	v_xor_b32_e32 v30, v30, v31
	v_xor_b32_e32 v1, v32, v1
	;; [unrolled: 1-line block ×12, first 2 shown]
	v_alignbit_b32 v30, v7, v7, 26
	v_alignbit_b32 v7, v17, v17, 11
	;; [unrolled: 1-line block ×8, first 2 shown]
	v_bfi_b32 v6, v5, 0, v7
	v_alignbit_b32 v20, v10, v10, 31
	v_xor_b32_e32 v10, v6, v9
	v_bfi_b32 v6, v7, 0, v1
	v_alignbit_b32 v37, v8, v8, 2
	v_bfi_b32 v39, v9, 0, v5
	v_xor_b32_e32 v8, v6, v5
	v_bfi_b32 v5, v1, 0, v29
	v_alignbit_b32 v25, v25, v25, 29
	v_alignbit_b32 v11, v11, v11, 12
	v_xor_b32_e32 v6, v7, v5
	v_bfi_b32 v5, v29, 0, v9
	v_alignbit_b32 v32, v19, v19, 17
	v_alignbit_b32 v19, v23, v23, 19
	;; [unrolled: 4-line block ×3, first 2 shown]
	v_alignbit_b32 v12, v22, v22, 3
	v_xor_b32_e32 v13, v17, v1
	v_bfi_b32 v1, v25, 0, v19
	v_xor_b32_e32 v9, v1, v11
	v_bfi_b32 v1, v19, 0, v12
	;; [unrolled: 2-line block ×3, first 2 shown]
	v_alignbit_b32 v34, v14, v14, 9
	v_alignbit_b32 v16, v16, v16, 7
	v_xor_b32_e32 v14, v1, v19
	v_bfi_b32 v1, v17, 0, v11
	v_alignbit_b32 v15, v15, v15, 24
	v_xor_b32_e32 v11, v1, v12
	v_bfi_b32 v1, v30, 0, v16
	;; [unrolled: 3-line block ×4, first 2 shown]
	v_xor_b32_e32 v18, v16, v1
	v_bfi_b32 v1, v23, 0, v20
	v_xor_b32_e32 v16, v1, v15
	v_bfi_b32 v1, v20, 0, v30
	;; [unrolled: 2-line block ×3, first 2 shown]
	v_alignbit_b32 v36, v27, v27, 23
	v_alignbit_b32 v24, v24, v24, 8
	v_xor_b32_e32 v27, v1, v26
	v_bfi_b32 v1, v31, 0, v32
	v_xor_b32_e32 v23, v33, v1
	v_bfi_b32 v1, v32, 0, v24
	;; [unrolled: 2-line block ×3, first 2 shown]
	s_add_u32 s10, s8, s4
	v_xor_b32_e32 v17, v1, v32
	v_bfi_b32 v1, v26, 0, v33
	s_addc_u32 s11, s9, s5
	v_xor_b32_e32 v15, v24, v1
	v_bfi_b32 v1, v34, 0, v38
	s_load_dword s1, s[10:11], 0x0
	v_xor_b32_e32 v28, v1, v37
	v_bfi_b32 v1, v38, 0, v36
	v_xor_b32_e32 v26, v34, v1
	v_bfi_b32 v1, v36, 0, v35
	;; [unrolled: 2-line block ×4, first 2 shown]
	s_add_u32 s4, s4, 4
	v_xor_b32_e32 v20, v1, v35
	s_waitcnt lgkmcnt(0)
	v_xor_b32_e32 v1, s1, v39
	s_addc_u32 s5, s5, 0
	s_cmpk_lg_i32 s4, 0x58
	v_xor_b32_e32 v29, v1, v29
	s_cbranch_scc1 .LBB0_2
; %bb.3:                                ;   in Loop: Header=BB0_1 Depth=1
	s_add_i32 s7, s7, 1
	s_cmpk_eq_i32 s7, 0x400
	s_cbranch_scc0 .LBB0_1
; %bb.4:
	s_lshl_b32 s0, s6, 9
	s_and_b32 s0, s0, 0x3ffffe00
	v_add_u32_e32 v0, s0, v0
	v_mov_b32_e32 v1, 0
	v_lshlrev_b64 v[0:1], 2, v[0:1]
	v_mov_b32_e32 v2, s3
	v_add_co_u32_e32 v0, vcc, s2, v0
	v_addc_co_u32_e32 v1, vcc, v2, v1, vcc
	global_store_dword v[0:1], v29, off
	global_store_dword v[0:1], v10, off offset:256
	global_store_dword v[0:1], v8, off offset:512
	;; [unrolled: 1-line block ×7, first 2 shown]
	s_endpgm
	.section	.rodata,"a",@progbits
	.p2align	6, 0x0
	.amdhsa_kernel _Z10ker_KeccakPKjPjS0_
		.amdhsa_group_segment_fixed_size 0
		.amdhsa_private_segment_fixed_size 0
		.amdhsa_kernarg_size 24
		.amdhsa_user_sgpr_count 6
		.amdhsa_user_sgpr_private_segment_buffer 1
		.amdhsa_user_sgpr_dispatch_ptr 0
		.amdhsa_user_sgpr_queue_ptr 0
		.amdhsa_user_sgpr_kernarg_segment_ptr 1
		.amdhsa_user_sgpr_dispatch_id 0
		.amdhsa_user_sgpr_flat_scratch_init 0
		.amdhsa_user_sgpr_private_segment_size 0
		.amdhsa_uses_dynamic_stack 0
		.amdhsa_system_sgpr_private_segment_wavefront_offset 0
		.amdhsa_system_sgpr_workgroup_id_x 1
		.amdhsa_system_sgpr_workgroup_id_y 0
		.amdhsa_system_sgpr_workgroup_id_z 0
		.amdhsa_system_sgpr_workgroup_info 0
		.amdhsa_system_vgpr_workitem_id 0
		.amdhsa_next_free_vgpr 46
		.amdhsa_next_free_sgpr 12
		.amdhsa_reserve_vcc 1
		.amdhsa_reserve_flat_scratch 0
		.amdhsa_float_round_mode_32 0
		.amdhsa_float_round_mode_16_64 0
		.amdhsa_float_denorm_mode_32 3
		.amdhsa_float_denorm_mode_16_64 3
		.amdhsa_dx10_clamp 1
		.amdhsa_ieee_mode 1
		.amdhsa_fp16_overflow 0
		.amdhsa_exception_fp_ieee_invalid_op 0
		.amdhsa_exception_fp_denorm_src 0
		.amdhsa_exception_fp_ieee_div_zero 0
		.amdhsa_exception_fp_ieee_overflow 0
		.amdhsa_exception_fp_ieee_underflow 0
		.amdhsa_exception_fp_ieee_inexact 0
		.amdhsa_exception_int_div_zero 0
	.end_amdhsa_kernel
	.text
.Lfunc_end0:
	.size	_Z10ker_KeccakPKjPjS0_, .Lfunc_end0-_Z10ker_KeccakPKjPjS0_
                                        ; -- End function
	.set _Z10ker_KeccakPKjPjS0_.num_vgpr, 46
	.set _Z10ker_KeccakPKjPjS0_.num_agpr, 0
	.set _Z10ker_KeccakPKjPjS0_.numbered_sgpr, 12
	.set _Z10ker_KeccakPKjPjS0_.num_named_barrier, 0
	.set _Z10ker_KeccakPKjPjS0_.private_seg_size, 0
	.set _Z10ker_KeccakPKjPjS0_.uses_vcc, 1
	.set _Z10ker_KeccakPKjPjS0_.uses_flat_scratch, 0
	.set _Z10ker_KeccakPKjPjS0_.has_dyn_sized_stack, 0
	.set _Z10ker_KeccakPKjPjS0_.has_recursion, 0
	.set _Z10ker_KeccakPKjPjS0_.has_indirect_call, 0
	.section	.AMDGPU.csdata,"",@progbits
; Kernel info:
; codeLenInByte = 1388
; TotalNumSgprs: 16
; NumVgprs: 46
; ScratchSize: 0
; MemoryBound: 0
; FloatMode: 240
; IeeeMode: 1
; LDSByteSize: 0 bytes/workgroup (compile time only)
; SGPRBlocks: 1
; VGPRBlocks: 11
; NumSGPRsForWavesPerEU: 16
; NumVGPRsForWavesPerEU: 46
; Occupancy: 5
; WaveLimiterHint : 1
; COMPUTE_PGM_RSRC2:SCRATCH_EN: 0
; COMPUTE_PGM_RSRC2:USER_SGPR: 6
; COMPUTE_PGM_RSRC2:TRAP_HANDLER: 0
; COMPUTE_PGM_RSRC2:TGID_X_EN: 1
; COMPUTE_PGM_RSRC2:TGID_Y_EN: 0
; COMPUTE_PGM_RSRC2:TGID_Z_EN: 0
; COMPUTE_PGM_RSRC2:TIDIG_COMP_CNT: 0
	.section	.AMDGPU.gpr_maximums,"",@progbits
	.set amdgpu.max_num_vgpr, 0
	.set amdgpu.max_num_agpr, 0
	.set amdgpu.max_num_sgpr, 0
	.section	.AMDGPU.csdata,"",@progbits
	.type	__hip_cuid_16e19d3961d756e8,@object ; @__hip_cuid_16e19d3961d756e8
	.section	.bss,"aw",@nobits
	.globl	__hip_cuid_16e19d3961d756e8
__hip_cuid_16e19d3961d756e8:
	.byte	0                               ; 0x0
	.size	__hip_cuid_16e19d3961d756e8, 1

	.ident	"AMD clang version 22.0.0git (https://github.com/RadeonOpenCompute/llvm-project roc-7.2.4 26084 f58b06dce1f9c15707c5f808fd002e18c2accf7e)"
	.section	".note.GNU-stack","",@progbits
	.addrsig
	.addrsig_sym __hip_cuid_16e19d3961d756e8
	.amdgpu_metadata
---
amdhsa.kernels:
  - .args:
      - .actual_access:  read_only
        .address_space:  global
        .offset:         0
        .size:           8
        .value_kind:     global_buffer
      - .actual_access:  write_only
        .address_space:  global
        .offset:         8
        .size:           8
        .value_kind:     global_buffer
      - .actual_access:  read_only
        .address_space:  global
        .offset:         16
        .size:           8
        .value_kind:     global_buffer
    .group_segment_fixed_size: 0
    .kernarg_segment_align: 8
    .kernarg_segment_size: 24
    .language:       OpenCL C
    .language_version:
      - 2
      - 0
    .max_flat_workgroup_size: 1024
    .name:           _Z10ker_KeccakPKjPjS0_
    .private_segment_fixed_size: 0
    .sgpr_count:     16
    .sgpr_spill_count: 0
    .symbol:         _Z10ker_KeccakPKjPjS0_.kd
    .uniform_work_group_size: 1
    .uses_dynamic_stack: false
    .vgpr_count:     46
    .vgpr_spill_count: 0
    .wavefront_size: 64
amdhsa.target:   amdgcn-amd-amdhsa--gfx906
amdhsa.version:
  - 1
  - 2
...

	.end_amdgpu_metadata
